;; amdgpu-corpus repo=ROCm/rocFFT kind=compiled arch=gfx906 opt=O3
	.text
	.amdgcn_target "amdgcn-amd-amdhsa--gfx906"
	.amdhsa_code_object_version 6
	.protected	fft_rtc_fwd_len625_factors_5_5_5_5_wgs_125_tpt_125_dp_op_CI_CI_sbrc_xy_z_unaligned_dirReg ; -- Begin function fft_rtc_fwd_len625_factors_5_5_5_5_wgs_125_tpt_125_dp_op_CI_CI_sbrc_xy_z_unaligned_dirReg
	.globl	fft_rtc_fwd_len625_factors_5_5_5_5_wgs_125_tpt_125_dp_op_CI_CI_sbrc_xy_z_unaligned_dirReg
	.p2align	8
	.type	fft_rtc_fwd_len625_factors_5_5_5_5_wgs_125_tpt_125_dp_op_CI_CI_sbrc_xy_z_unaligned_dirReg,@function
fft_rtc_fwd_len625_factors_5_5_5_5_wgs_125_tpt_125_dp_op_CI_CI_sbrc_xy_z_unaligned_dirReg: ; @fft_rtc_fwd_len625_factors_5_5_5_5_wgs_125_tpt_125_dp_op_CI_CI_sbrc_xy_z_unaligned_dirReg
; %bb.0:
	s_load_dwordx4 s[0:3], s[4:5], 0x10
	s_load_dwordx2 s[26:27], s[4:5], 0x20
	s_mov_b32 s7, 0
	s_mov_b64 s[20:21], 0
	s_waitcnt lgkmcnt(0)
	s_load_dwordx4 s[16:19], s[0:1], 0x8
	s_mov_b32 s1, s7
	s_load_dwordx4 s[12:15], s[2:3], 0x0
	s_load_dwordx2 s[22:23], s[2:3], 0x10
	s_waitcnt lgkmcnt(0)
	s_mul_i32 s0, s16, s18
	v_cvt_f32_u32_e32 v1, s0
	s_sub_i32 s8, 0, s0
	v_rcp_iflag_f32_e32 v1, v1
	v_mul_f32_e32 v1, 0x4f7ffffe, v1
	v_cvt_u32_f32_e32 v3, v1
	v_mov_b32_e32 v1, s16
	v_mov_b32_e32 v2, s17
	v_readfirstlane_b32 s9, v3
	s_mul_i32 s8, s8, s9
	s_mul_hi_u32 s8, s9, s8
	s_add_i32 s9, s9, s8
	s_mul_hi_u32 s8, s6, s9
	s_mul_i32 s9, s8, s0
	s_sub_i32 s9, s6, s9
	s_add_i32 s10, s8, 1
	s_sub_i32 s11, s9, s0
	s_cmp_ge_u32 s9, s0
	s_cselect_b32 s8, s10, s8
	s_cselect_b32 s9, s11, s9
	s_add_i32 s10, s8, 1
	s_cmp_ge_u32 s9, s0
	s_cselect_b32 s30, s10, s8
	s_mul_i32 s0, s30, s0
	s_sub_i32 s0, s6, s0
	v_cmp_lt_u64_e32 vcc, s[0:1], v[1:2]
	v_cvt_f32_u32_e32 v1, s16
	s_cbranch_vccnz .LBB0_2
; %bb.1:
	v_rcp_iflag_f32_e32 v2, v1
	s_sub_i32 s1, 0, s16
	v_mul_f32_e32 v2, 0x4f7ffffe, v2
	v_cvt_u32_f32_e32 v2, v2
	v_readfirstlane_b32 s8, v2
	s_mul_i32 s1, s1, s8
	s_mul_hi_u32 s1, s8, s1
	s_add_i32 s8, s8, s1
	s_mul_hi_u32 s1, s0, s8
	s_mul_i32 s9, s1, s16
	s_sub_i32 s0, s0, s9
	s_add_i32 s8, s1, 1
	s_sub_i32 s9, s0, s16
	s_cmp_ge_u32 s0, s16
	s_cselect_b32 s1, s8, s1
	s_cselect_b32 s0, s9, s0
	s_add_i32 s8, s1, 1
	s_cmp_ge_u32 s0, s16
	s_cselect_b32 s20, s8, s1
.LBB0_2:
	s_load_dwordx2 s[24:25], s[4:5], 0x58
	v_mov_b32_e32 v2, s16
	v_mov_b32_e32 v3, s17
	v_cmp_lt_u64_e32 vcc, s[6:7], v[2:3]
	s_cbranch_vccnz .LBB0_4
; %bb.3:
	v_rcp_iflag_f32_e32 v1, v1
	s_sub_i32 s0, 0, s16
	v_mul_f32_e32 v1, 0x4f7ffffe, v1
	v_cvt_u32_f32_e32 v1, v1
	v_readfirstlane_b32 s1, v1
	s_mul_i32 s0, s0, s1
	s_mul_hi_u32 s0, s1, s0
	s_add_i32 s1, s1, s0
	s_mul_hi_u32 s0, s6, s1
	s_mul_i32 s0, s0, s16
	s_sub_i32 s0, s6, s0
	s_sub_i32 s1, s0, s16
	s_cmp_ge_u32 s0, s16
	s_cselect_b32 s0, s1, s0
	s_sub_i32 s1, s0, s16
	s_cmp_ge_u32 s0, s16
	s_cselect_b32 s6, s1, s0
.LBB0_4:
	s_load_dwordx4 s[8:11], s[4:5], 0x0
	s_mul_i32 s0, s6, s14
	s_mul_i32 s1, s20, s22
	s_add_i32 s7, s0, s1
	s_waitcnt lgkmcnt(0)
	s_lshl_b64 s[14:15], s[10:11], 3
	s_add_u32 s16, s2, s14
	s_addc_u32 s17, s3, s15
	s_load_dwordx2 s[28:29], s[16:17], 0x0
	s_load_dwordx4 s[0:3], s[26:27], 0x0
	s_load_dwordx2 s[10:11], s[26:27], 0x10
	s_waitcnt lgkmcnt(0)
	s_mul_i32 s3, s29, s30
	s_mul_hi_u32 s11, s28, s30
	s_mul_i32 s16, s28, s30
	s_add_i32 s11, s11, s3
	s_add_u32 s28, s7, s16
	s_addc_u32 s29, 0, s11
	s_add_u32 s14, s26, s14
	s_addc_u32 s15, s27, s15
	s_load_dwordx2 s[14:15], s[14:15], 0x0
	s_cmp_lt_u32 s20, s18
	s_cselect_b64 s[16:17], -1, 0
	s_mov_b64 s[18:19], -1
	s_and_b64 vcc, exec, s[16:17]
	s_cbranch_vccnz .LBB0_9
; %bb.5:
	s_movk_i32 s3, 0x271
	v_cmp_gt_u32_e32 vcc, s3, v0
	s_and_saveexec_b64 s[18:19], vcc
	s_cbranch_execz .LBB0_8
; %bb.6:
	s_lshl_b64 s[26:27], s[28:29], 4
	s_add_u32 s3, s24, s26
	s_addc_u32 s11, s25, s27
	s_mov_b32 s7, 0
	v_lshl_add_u32 v1, v0, 4, 0
	s_mov_b64 s[26:27], 0
	v_mov_b32_e32 v2, s11
	s_movk_i32 s11, 0x270
	v_mov_b32_e32 v3, v0
.LBB0_7:                                ; =>This Inner Loop Header: Depth=1
	v_add_u32_e32 v6, s7, v0
	v_mad_u64_u32 v[4:5], s[34:35], s12, v6, 0
	v_add_u32_e32 v3, 0x7d, v3
	s_addk_i32 s7, 0x7d
	v_mad_u64_u32 v[5:6], s[34:35], s13, v6, v[5:6]
	v_lshlrev_b64 v[4:5], 4, v[4:5]
	v_add_co_u32_e32 v4, vcc, s3, v4
	v_addc_co_u32_e32 v5, vcc, v2, v5, vcc
	global_load_dwordx4 v[4:7], v[4:5], off
	v_cmp_lt_u32_e32 vcc, s11, v3
	s_or_b64 s[26:27], vcc, s[26:27]
	s_waitcnt vmcnt(0)
	ds_write_b128 v1, v[4:7]
	v_add_u32_e32 v1, 0x7d0, v1
	s_andn2_b64 exec, exec, s[26:27]
	s_cbranch_execnz .LBB0_7
.LBB0_8:
	s_or_b64 exec, exec, s[18:19]
	s_mov_b64 s[18:19], 0
.LBB0_9:
	s_andn2_b64 vcc, exec, s[18:19]
	s_cbranch_vccnz .LBB0_11
; %bb.10:
	s_movk_i32 s3, 0x271
	v_add_u32_e32 v1, 0xfffffd8f, v0
	v_cmp_gt_u32_e32 vcc, s3, v0
	v_cndmask_b32_e32 v24, v1, v0, vcc
	v_mad_u64_u32 v[1:2], s[18:19], s12, v24, 0
	s_movk_i32 s3, 0x270
	v_cmp_lt_u32_e32 vcc, s3, v0
	v_mad_u64_u32 v[2:3], s[18:19], s13, v24, v[2:3]
	v_mov_b32_e32 v6, s22
	s_movk_i32 s11, 0x1f4
	v_cndmask_b32_e64 v25, 0, 1, vcc
	v_cndmask_b32_e32 v9, 0, v6, vcc
	v_mov_b32_e32 v3, 0xfffffe0c
	v_mov_b32_e32 v4, 0x7d
	v_cmp_gt_u32_e32 vcc, s11, v0
	s_lshl_b64 s[18:19], s[28:29], 4
	v_cndmask_b32_e32 v3, v3, v4, vcc
	s_add_u32 s3, s24, s18
	v_add_u32_e32 v26, v3, v0
	s_addc_u32 s7, s25, s19
	v_mad_u64_u32 v[3:4], s[18:19], s12, v26, 0
	v_lshlrev_b64 v[1:2], 4, v[1:2]
	v_mov_b32_e32 v5, s7
	v_add_co_u32_e32 v7, vcc, s3, v1
	v_mov_b32_e32 v10, 0
	v_addc_co_u32_e32 v8, vcc, v5, v2, vcc
	v_mad_u64_u32 v[4:5], s[18:19], s13, v26, v[4:5]
	v_lshlrev_b64 v[1:2], 4, v[9:10]
	v_add_u16_e32 v28, 0xfa, v0
	v_add_co_u32_e32 v11, vcc, v7, v1
	v_addc_co_u32_e32 v12, vcc, v8, v2, vcc
	v_lshlrev_b64 v[1:2], 4, v[3:4]
	v_mad_u64_u32 v[3:4], s[18:19], s12, v28, 0
	s_movk_i32 s11, 0x1f3
	v_cmp_lt_u32_e32 vcc, s11, v0
	v_cndmask_b32_e64 v27, 0, 1, vcc
	v_cndmask_b32_e32 v9, 0, v6, vcc
	v_mov_b32_e32 v5, s7
	v_add_co_u32_e32 v6, vcc, s3, v1
	v_addc_co_u32_e32 v7, vcc, v5, v2, vcc
	v_mad_u64_u32 v[4:5], s[18:19], s13, v28, v[4:5]
	v_lshlrev_b64 v[1:2], 4, v[9:10]
	v_add_u16_e32 v29, 0x177, v0
	v_add_co_u32_e32 v13, vcc, v6, v1
	v_addc_co_u32_e32 v14, vcc, v7, v2, vcc
	v_lshlrev_b64 v[1:2], 4, v[3:4]
	v_mad_u64_u32 v[3:4], s[18:19], s12, v29, 0
	v_mov_b32_e32 v5, s7
	v_add_co_u32_e32 v17, vcc, s3, v1
	v_mov_b32_e32 v1, v4
	v_addc_co_u32_e32 v18, vcc, v5, v2, vcc
	v_mad_u64_u32 v[1:2], s[18:19], s13, v29, v[1:2]
	v_add_u16_e32 v2, 0x1f4, v0
	v_mul_u32_u24_e32 v4, 0x69, v2
	v_lshrrev_b32_e32 v30, 16, v4
	v_mul_lo_u16_e32 v4, 0x271, v30
	v_sub_u16_e32 v31, v2, v4
	v_mad_u64_u32 v[15:16], s[18:19], s12, v31, 0
	v_mov_b32_e32 v4, v1
	v_lshlrev_b64 v[1:2], 4, v[3:4]
	v_mov_b32_e32 v4, s7
	v_mov_b32_e32 v3, v16
	v_mad_u64_u32 v[19:20], s[12:13], s13, v31, v[3:4]
	v_mul_lo_u32 v9, s22, v30
	v_add_co_u32_e32 v20, vcc, s3, v1
	v_mov_b32_e32 v16, v19
	v_addc_co_u32_e32 v21, vcc, v4, v2, vcc
	global_load_dwordx4 v[1:4], v[11:12], off
	global_load_dwordx4 v[5:8], v[13:14], off
	v_lshlrev_b64 v[11:12], 4, v[15:16]
	v_mov_b32_e32 v13, s7
	v_add_co_u32_e32 v19, vcc, s3, v11
	v_lshlrev_b64 v[22:23], 4, v[9:10]
	v_addc_co_u32_e32 v32, vcc, v13, v12, vcc
	global_load_dwordx4 v[9:12], v[17:18], off
	global_load_dwordx4 v[13:16], v[20:21], off
	v_add_co_u32_e32 v17, vcc, v19, v22
	v_addc_co_u32_e32 v18, vcc, v32, v23, vcc
	global_load_dwordx4 v[17:20], v[17:18], off
	v_lshlrev_b32_e32 v21, 4, v24
	v_lshlrev_b32_e32 v22, 4, v25
	v_add3_u32 v21, 0, v21, v22
	s_waitcnt vmcnt(4)
	ds_write_b128 v21, v[1:4]
	v_lshlrev_b32_e32 v1, 4, v26
	v_lshlrev_b32_e32 v2, 4, v27
	v_add3_u32 v1, 0, v1, v2
	s_waitcnt vmcnt(3)
	ds_write_b128 v1, v[5:8]
	v_lshl_add_u32 v1, v28, 4, 0
	s_waitcnt vmcnt(2)
	ds_write_b128 v1, v[9:12]
	v_lshl_add_u32 v1, v29, 4, 0
	s_waitcnt vmcnt(1)
	ds_write_b128 v1, v[13:16]
	v_add_u16_e32 v1, v31, v30
	v_lshl_add_u32 v1, v1, 4, 0
	s_waitcnt vmcnt(0)
	ds_write_b128 v1, v[17:20]
.LBB0_11:
	v_lshl_add_u32 v1, v0, 4, 0
	s_waitcnt lgkmcnt(0)
	s_barrier
	ds_read_b128 v[2:5], v1
	ds_read_b128 v[6:9], v1 offset:2000
	ds_read_b128 v[10:13], v1 offset:4000
	;; [unrolled: 1-line block ×4, first 2 shown]
	s_mov_b32 s18, 0x134454ff
	s_mov_b32 s19, 0x3fee6f0e
	;; [unrolled: 1-line block ×3, first 2 shown]
	s_waitcnt lgkmcnt(3)
	v_add_f64 v[24:25], v[4:5], v[8:9]
	v_add_f64 v[22:23], v[2:3], v[6:7]
	s_waitcnt lgkmcnt(1)
	v_add_f64 v[34:35], v[12:13], v[16:17]
	v_add_f64 v[26:27], v[10:11], v[14:15]
	v_add_f64 v[28:29], v[12:13], -v[16:17]
	v_add_f64 v[36:37], v[8:9], -v[12:13]
	s_waitcnt lgkmcnt(0)
	v_add_f64 v[38:39], v[8:9], -v[20:21]
	v_add_f64 v[40:41], v[6:7], v[18:19]
	v_add_f64 v[24:25], v[24:25], v[12:13]
	;; [unrolled: 1-line block ×3, first 2 shown]
	v_add_f64 v[12:13], v[12:13], -v[8:9]
	v_add_f64 v[42:43], v[6:7], -v[18:19]
	v_add_f64 v[44:45], v[8:9], v[20:21]
	v_add_f64 v[30:31], v[6:7], -v[10:11]
	v_add_f64 v[32:33], v[10:11], -v[6:7]
	;; [unrolled: 1-line block ×3, first 2 shown]
	v_add_f64 v[24:25], v[24:25], v[16:17]
	v_add_f64 v[22:23], v[22:23], v[14:15]
	s_mov_b32 s26, s18
	s_mov_b32 s12, 0x4755a5e
	;; [unrolled: 1-line block ×6, first 2 shown]
	v_add_f64 v[8:9], v[24:25], v[20:21]
	v_add_f64 v[24:25], v[20:21], -v[16:17]
	v_add_f64 v[16:17], v[16:17], -v[20:21]
	v_fma_f64 v[20:21], v[34:35], -0.5, v[4:5]
	v_add_f64 v[6:7], v[22:23], v[18:19]
	v_add_f64 v[22:23], v[18:19], -v[14:15]
	v_add_f64 v[14:15], v[14:15], -v[18:19]
	v_fma_f64 v[18:19], v[26:27], -0.5, v[2:3]
	v_fma_f64 v[2:3], v[40:41], -0.5, v[2:3]
	;; [unrolled: 1-line block ×3, first 2 shown]
	v_add_f64 v[24:25], v[36:37], v[24:25]
	v_fma_f64 v[34:35], v[42:43], s[26:27], v[20:21]
	v_fma_f64 v[20:21], v[42:43], s[18:19], v[20:21]
	v_add_f64 v[22:23], v[30:31], v[22:23]
	s_mov_b32 s25, 0x3fd3c6ef
	v_fma_f64 v[26:27], v[38:39], s[18:19], v[18:19]
	v_fma_f64 v[18:19], v[38:39], s[26:27], v[18:19]
	;; [unrolled: 1-line block ×10, first 2 shown]
	v_add_f64 v[28:29], v[32:33], v[14:15]
	s_barrier
	v_fma_f64 v[14:15], v[38:39], s[12:13], v[34:35]
	v_add_f64 v[34:35], v[12:13], v[16:17]
	v_fma_f64 v[16:17], v[42:43], s[22:23], v[36:37]
	v_fma_f64 v[32:33], v[38:39], s[22:23], v[2:3]
	;; [unrolled: 1-line block ×11, first 2 shown]
	v_lshl_add_u32 v22, v0, 6, v1
	ds_write_b128 v22, v[6:9]
	ds_write_b128 v22, v[2:5] offset:16
	ds_write_b128 v22, v[14:17] offset:32
	;; [unrolled: 1-line block ×4, first 2 shown]
	v_mul_u32_u24_e32 v40, 0x3334, v0
	v_mov_b32_e32 v2, 5
	v_mul_lo_u16_sdwa v2, v40, v2 dst_sel:DWORD dst_unused:UNUSED_PAD src0_sel:WORD_1 src1_sel:DWORD
	v_sub_u16_e32 v44, v0, v2
	v_lshlrev_b32_e32 v18, 6, v44
	s_waitcnt lgkmcnt(0)
	s_barrier
	global_load_dwordx4 v[2:5], v18, s[8:9]
	global_load_dwordx4 v[6:9], v18, s[8:9] offset:48
	global_load_dwordx4 v[10:13], v18, s[8:9] offset:16
	;; [unrolled: 1-line block ×3, first 2 shown]
	ds_read_b128 v[18:21], v1 offset:2000
	ds_read_b128 v[22:25], v1 offset:8000
	ds_read_b128 v[26:29], v1
	s_movk_i32 s3, 0x190
	v_mul_u32_u24_sdwa v45, v40, s3 dst_sel:DWORD dst_unused:UNUSED_PAD src0_sel:WORD_1 src1_sel:DWORD
	s_movk_i32 s3, 0x7d0
	s_mov_b32 s7, 0
	s_andn2_b64 vcc, exec, s[16:17]
	s_waitcnt vmcnt(3) lgkmcnt(2)
	v_mul_f64 v[30:31], v[20:21], v[4:5]
	v_mul_f64 v[4:5], v[18:19], v[4:5]
	s_waitcnt vmcnt(2) lgkmcnt(1)
	v_mul_f64 v[32:33], v[24:25], v[8:9]
	v_mul_f64 v[8:9], v[22:23], v[8:9]
	v_fma_f64 v[30:31], v[18:19], v[2:3], -v[30:31]
	v_fma_f64 v[34:35], v[20:21], v[2:3], v[4:5]
	ds_read_b128 v[2:5], v1 offset:4000
	ds_read_b128 v[18:21], v1 offset:6000
	v_fma_f64 v[22:23], v[22:23], v[6:7], -v[32:33]
	v_fma_f64 v[6:7], v[24:25], v[6:7], v[8:9]
	s_waitcnt vmcnt(1) lgkmcnt(0)
	v_mul_f64 v[36:37], v[4:5], v[12:13]
	s_waitcnt vmcnt(0)
	v_mul_f64 v[38:39], v[20:21], v[16:17]
	v_mul_f64 v[8:9], v[2:3], v[12:13]
	v_mul_f64 v[12:13], v[18:19], v[16:17]
	v_add_f64 v[40:41], v[28:29], v[34:35]
	s_barrier
	v_fma_f64 v[2:3], v[2:3], v[10:11], -v[36:37]
	v_fma_f64 v[16:17], v[18:19], v[14:15], -v[38:39]
	v_fma_f64 v[4:5], v[4:5], v[10:11], v[8:9]
	v_fma_f64 v[8:9], v[20:21], v[14:15], v[12:13]
	v_add_f64 v[14:15], v[30:31], v[22:23]
	v_add_f64 v[18:19], v[34:35], v[6:7]
	v_add_f64 v[10:11], v[2:3], -v[30:31]
	v_add_f64 v[20:21], v[2:3], v[16:17]
	v_add_f64 v[12:13], v[16:17], -v[22:23]
	v_add_f64 v[24:25], v[4:5], v[8:9]
	v_fma_f64 v[14:15], v[14:15], -0.5, v[26:27]
	v_add_f64 v[32:33], v[4:5], -v[34:35]
	v_add_f64 v[36:37], v[8:9], -v[6:7]
	v_fma_f64 v[18:19], v[18:19], -0.5, v[28:29]
	v_add_f64 v[42:43], v[2:3], -v[16:17]
	v_fma_f64 v[20:21], v[20:21], -0.5, v[26:27]
	v_add_f64 v[26:27], v[26:27], v[30:31]
	v_fma_f64 v[24:25], v[24:25], -0.5, v[28:29]
	v_add_f64 v[28:29], v[30:31], -v[2:3]
	v_add_f64 v[38:39], v[4:5], -v[8:9]
	v_add_f64 v[10:11], v[10:11], v[12:13]
	v_add_f64 v[12:13], v[34:35], -v[4:5]
	v_add_f64 v[4:5], v[40:41], v[4:5]
	v_add_f64 v[40:41], v[6:7], -v[8:9]
	v_add_f64 v[26:27], v[26:27], v[2:3]
	v_lshlrev_b32_e32 v2, 4, v44
	v_add3_u32 v44, 0, v45, v2
	v_add_f64 v[2:3], v[34:35], -v[6:7]
	v_add_f64 v[30:31], v[30:31], -v[22:23]
	v_add_f64 v[32:33], v[32:33], v[36:37]
	v_add_f64 v[36:37], v[22:23], -v[16:17]
	v_add_f64 v[34:35], v[12:13], v[40:41]
	v_fma_f64 v[12:13], v[38:39], s[26:27], v[14:15]
	v_fma_f64 v[14:15], v[38:39], s[18:19], v[14:15]
	v_add_f64 v[16:17], v[26:27], v[16:17]
	v_add_f64 v[4:5], v[4:5], v[8:9]
	v_fma_f64 v[8:9], v[2:3], s[18:19], v[20:21]
	v_fma_f64 v[26:27], v[30:31], s[26:27], v[24:25]
	v_add_f64 v[28:29], v[28:29], v[36:37]
	v_fma_f64 v[36:37], v[42:43], s[18:19], v[18:19]
	v_fma_f64 v[18:19], v[42:43], s[26:27], v[18:19]
	v_fma_f64 v[20:21], v[2:3], s[26:27], v[20:21]
	v_fma_f64 v[24:25], v[30:31], s[18:19], v[24:25]
	v_fma_f64 v[12:13], v[2:3], s[12:13], v[12:13]
	v_fma_f64 v[14:15], v[2:3], s[22:23], v[14:15]
	v_add_f64 v[2:3], v[16:17], v[22:23]
	v_fma_f64 v[16:17], v[38:39], s[12:13], v[8:9]
	v_fma_f64 v[22:23], v[42:43], s[22:23], v[26:27]
	v_fma_f64 v[36:37], v[30:31], s[22:23], v[36:37]
	v_fma_f64 v[18:19], v[30:31], s[12:13], v[18:19]
	;; [unrolled: 7-line block ×3, first 2 shown]
	v_fma_f64 v[8:9], v[32:33], s[24:25], v[36:37]
	v_fma_f64 v[12:13], v[32:33], s[24:25], v[18:19]
	;; [unrolled: 1-line block ×4, first 2 shown]
	ds_write_b128 v44, v[2:5]
	ds_write_b128 v44, v[14:17] offset:80
	ds_write_b128 v44, v[6:9] offset:160
	;; [unrolled: 1-line block ×4, first 2 shown]
	v_mul_u32_u24_e32 v40, 0xa3e, v0
	v_mov_b32_e32 v2, 25
	v_mul_lo_u16_sdwa v2, v40, v2 dst_sel:DWORD dst_unused:UNUSED_PAD src0_sel:WORD_1 src1_sel:DWORD
	v_sub_u16_e32 v44, v0, v2
	v_lshlrev_b32_e32 v18, 6, v44
	s_waitcnt lgkmcnt(0)
	s_barrier
	global_load_dwordx4 v[2:5], v18, s[8:9] offset:320
	global_load_dwordx4 v[6:9], v18, s[8:9] offset:368
	;; [unrolled: 1-line block ×4, first 2 shown]
	ds_read_b128 v[18:21], v1 offset:2000
	ds_read_b128 v[22:25], v1 offset:8000
	ds_read_b128 v[26:29], v1
	v_mul_u32_u24_sdwa v45, v40, s3 dst_sel:DWORD dst_unused:UNUSED_PAD src0_sel:WORD_1 src1_sel:DWORD
	s_waitcnt vmcnt(3) lgkmcnt(2)
	v_mul_f64 v[30:31], v[20:21], v[4:5]
	v_mul_f64 v[4:5], v[18:19], v[4:5]
	s_waitcnt vmcnt(2) lgkmcnt(1)
	v_mul_f64 v[32:33], v[24:25], v[8:9]
	v_mul_f64 v[8:9], v[22:23], v[8:9]
	v_fma_f64 v[30:31], v[18:19], v[2:3], -v[30:31]
	v_fma_f64 v[34:35], v[20:21], v[2:3], v[4:5]
	ds_read_b128 v[2:5], v1 offset:4000
	ds_read_b128 v[18:21], v1 offset:6000
	v_fma_f64 v[22:23], v[22:23], v[6:7], -v[32:33]
	v_fma_f64 v[6:7], v[24:25], v[6:7], v[8:9]
	s_waitcnt vmcnt(1) lgkmcnt(0)
	v_mul_f64 v[36:37], v[4:5], v[12:13]
	s_waitcnt vmcnt(0)
	v_mul_f64 v[38:39], v[20:21], v[16:17]
	v_mul_f64 v[8:9], v[2:3], v[12:13]
	;; [unrolled: 1-line block ×3, first 2 shown]
	v_add_f64 v[40:41], v[28:29], v[34:35]
	s_barrier
	v_fma_f64 v[2:3], v[2:3], v[10:11], -v[36:37]
	v_fma_f64 v[16:17], v[18:19], v[14:15], -v[38:39]
	v_fma_f64 v[4:5], v[4:5], v[10:11], v[8:9]
	v_fma_f64 v[8:9], v[20:21], v[14:15], v[12:13]
	v_add_f64 v[14:15], v[30:31], v[22:23]
	v_add_f64 v[18:19], v[34:35], v[6:7]
	v_add_f64 v[10:11], v[2:3], -v[30:31]
	v_add_f64 v[20:21], v[2:3], v[16:17]
	v_add_f64 v[12:13], v[16:17], -v[22:23]
	v_add_f64 v[24:25], v[4:5], v[8:9]
	v_fma_f64 v[14:15], v[14:15], -0.5, v[26:27]
	v_add_f64 v[32:33], v[4:5], -v[34:35]
	v_add_f64 v[36:37], v[8:9], -v[6:7]
	v_fma_f64 v[18:19], v[18:19], -0.5, v[28:29]
	v_add_f64 v[42:43], v[2:3], -v[16:17]
	v_fma_f64 v[20:21], v[20:21], -0.5, v[26:27]
	v_add_f64 v[26:27], v[26:27], v[30:31]
	v_fma_f64 v[24:25], v[24:25], -0.5, v[28:29]
	v_add_f64 v[28:29], v[30:31], -v[2:3]
	v_add_f64 v[38:39], v[4:5], -v[8:9]
	v_add_f64 v[10:11], v[10:11], v[12:13]
	v_add_f64 v[12:13], v[34:35], -v[4:5]
	v_add_f64 v[4:5], v[40:41], v[4:5]
	;; [unrolled: 2-line block ×3, first 2 shown]
	v_lshlrev_b32_e32 v2, 4, v44
	v_add3_u32 v44, 0, v45, v2
	v_add_f64 v[2:3], v[34:35], -v[6:7]
	v_add_f64 v[30:31], v[30:31], -v[22:23]
	v_add_f64 v[32:33], v[32:33], v[36:37]
	v_add_f64 v[36:37], v[22:23], -v[16:17]
	v_add_f64 v[34:35], v[12:13], v[40:41]
	v_fma_f64 v[12:13], v[38:39], s[26:27], v[14:15]
	v_fma_f64 v[14:15], v[38:39], s[18:19], v[14:15]
	v_add_f64 v[16:17], v[26:27], v[16:17]
	v_add_f64 v[4:5], v[4:5], v[8:9]
	v_fma_f64 v[8:9], v[2:3], s[18:19], v[20:21]
	v_fma_f64 v[26:27], v[30:31], s[26:27], v[24:25]
	v_add_f64 v[28:29], v[28:29], v[36:37]
	v_fma_f64 v[36:37], v[42:43], s[18:19], v[18:19]
	v_fma_f64 v[18:19], v[42:43], s[26:27], v[18:19]
	v_fma_f64 v[20:21], v[2:3], s[26:27], v[20:21]
	v_fma_f64 v[24:25], v[30:31], s[18:19], v[24:25]
	v_fma_f64 v[12:13], v[2:3], s[12:13], v[12:13]
	v_fma_f64 v[14:15], v[2:3], s[22:23], v[14:15]
	v_add_f64 v[2:3], v[16:17], v[22:23]
	v_fma_f64 v[16:17], v[38:39], s[12:13], v[8:9]
	v_fma_f64 v[22:23], v[42:43], s[22:23], v[26:27]
	v_fma_f64 v[36:37], v[30:31], s[22:23], v[36:37]
	v_fma_f64 v[18:19], v[30:31], s[12:13], v[18:19]
	;; [unrolled: 7-line block ×3, first 2 shown]
	v_fma_f64 v[8:9], v[32:33], s[24:25], v[36:37]
	v_fma_f64 v[12:13], v[32:33], s[24:25], v[18:19]
	;; [unrolled: 1-line block ×4, first 2 shown]
	ds_write_b128 v44, v[2:5]
	ds_write_b128 v44, v[14:17] offset:400
	ds_write_b128 v44, v[6:9] offset:800
	;; [unrolled: 1-line block ×4, first 2 shown]
	s_waitcnt lgkmcnt(0)
	s_barrier
	s_cbranch_vccnz .LBB0_13
; %bb.12:
	s_movk_i32 s3, 0x20d
	v_mul_u32_u24_sdwa v38, v0, s3 dst_sel:DWORD dst_unused:UNUSED_PAD src0_sel:WORD_0 src1_sel:DWORD
	s_movk_i32 s3, 0x7d
	v_mul_lo_u16_sdwa v2, v38, s3 dst_sel:DWORD dst_unused:UNUSED_PAD src0_sel:WORD_1 src1_sel:DWORD
	v_sub_u16_e32 v2, v0, v2
	v_lshlrev_b16_e32 v2, 2, v2
	v_lshlrev_b32_e32 v18, 4, v2
	global_load_dwordx4 v[2:5], v18, s[8:9] offset:1968
	global_load_dwordx4 v[6:9], v18, s[8:9] offset:1952
	;; [unrolled: 1-line block ×4, first 2 shown]
	s_mul_hi_u32 s3, s20, s0
	s_mul_i32 s8, s20, s0
	s_mul_hi_u32 s11, s14, s30
	s_mul_i32 s0, s14, s30
	s_movk_i32 s14, 0x1f4
	ds_read_b128 v[18:21], v1 offset:8000
	ds_read_b128 v[22:25], v1 offset:6000
	;; [unrolled: 1-line block ×4, first 2 shown]
	ds_read_b128 v[34:37], v1
	v_mul_lo_u16_sdwa v1, v38, s14 dst_sel:DWORD dst_unused:UNUSED_PAD src0_sel:WORD_1 src1_sel:DWORD
	v_add_u32_e32 v0, v0, v1
	v_mul_lo_u32 v38, v0, s2
	s_load_dwordx2 s[4:5], s[4:5], 0x60
	s_mul_i32 s6, s6, s10
	s_mul_i32 s1, s20, s1
	s_mul_i32 s10, s15, s30
	s_add_i32 s9, s3, s1
	s_add_i32 s1, s11, s10
	s_lshl_b64 s[6:7], s[6:7], 4
	s_waitcnt lgkmcnt(0)
	s_add_u32 s4, s4, s6
	s_mul_i32 s15, s2, 0x7d
	s_addc_u32 s5, s5, s7
	s_lshl_b64 s[2:3], s[8:9], 4
	s_add_u32 s2, s4, s2
	v_mov_b32_e32 v39, 0
	s_addc_u32 s3, s5, s3
	s_lshl_b64 s[0:1], s[0:1], 4
	s_add_u32 s0, s2, s0
	s_addc_u32 s1, s3, s1
	s_waitcnt vmcnt(3)
	v_mul_f64 v[0:1], v[4:5], v[20:21]
	v_mul_f64 v[20:21], v[2:3], v[20:21]
	s_waitcnt vmcnt(2)
	v_mul_f64 v[40:41], v[8:9], v[24:25]
	v_fma_f64 v[0:1], v[2:3], v[18:19], -v[0:1]
	v_fma_f64 v[2:3], v[18:19], v[4:5], v[20:21]
	v_mul_f64 v[4:5], v[6:7], v[24:25]
	s_waitcnt vmcnt(1)
	v_mul_f64 v[24:25], v[12:13], v[28:29]
	v_fma_f64 v[6:7], v[6:7], v[22:23], -v[40:41]
	v_lshlrev_b64 v[18:19], 4, v[38:39]
	v_add_u32_e32 v38, s15, v38
	v_lshlrev_b64 v[20:21], 4, v[38:39]
	v_add_u32_e32 v38, s15, v38
	v_mov_b32_e32 v40, s1
	v_fma_f64 v[4:5], v[22:23], v[8:9], v[4:5]
	v_mul_f64 v[8:9], v[10:11], v[28:29]
	v_fma_f64 v[10:11], v[10:11], v[26:27], -v[24:25]
	s_waitcnt vmcnt(0)
	v_mul_f64 v[24:25], v[14:15], v[32:33]
	v_mov_b32_e32 v28, s1
	v_mov_b32_e32 v29, s1
	v_lshlrev_b64 v[22:23], 4, v[38:39]
	v_add_f64 v[42:43], v[0:1], -v[6:7]
	v_add_u32_e32 v38, s15, v38
	v_fma_f64 v[8:9], v[26:27], v[12:13], v[8:9]
	v_mul_f64 v[12:13], v[16:17], v[32:33]
	v_add_co_u32_e32 v26, vcc, s0, v18
	v_addc_co_u32_e32 v27, vcc, v28, v19, vcc
	v_add_co_u32_e32 v20, vcc, s0, v20
	v_addc_co_u32_e32 v21, vcc, v29, v21, vcc
	v_fma_f64 v[12:13], v[14:15], v[30:31], -v[12:13]
	v_fma_f64 v[14:15], v[30:31], v[16:17], v[24:25]
	v_add_f64 v[16:17], v[6:7], v[10:11]
	v_add_f64 v[18:19], v[4:5], v[8:9]
	v_add_co_u32_e32 v22, vcc, s0, v22
	v_addc_co_u32_e32 v23, vcc, v40, v23, vcc
	v_add_f64 v[24:25], v[0:1], v[12:13]
	v_add_f64 v[28:29], v[2:3], v[14:15]
	;; [unrolled: 1-line block ×4, first 2 shown]
	v_add_f64 v[40:41], v[12:13], -v[10:11]
	v_fma_f64 v[16:17], v[16:17], -0.5, v[34:35]
	v_fma_f64 v[18:19], v[18:19], -0.5, v[36:37]
	;; [unrolled: 1-line block ×4, first 2 shown]
	v_add_f64 v[34:35], v[14:15], -v[8:9]
	v_add_f64 v[36:37], v[2:3], -v[4:5]
	v_add_f64 v[30:31], v[10:11], v[30:31]
	v_add_f64 v[32:33], v[8:9], v[32:33]
	;; [unrolled: 1-line block ×3, first 2 shown]
	v_add_f64 v[42:43], v[8:9], -v[4:5]
	v_add_f64 v[8:9], v[8:9], -v[14:15]
	v_add_f64 v[14:15], v[14:15], -v[2:3]
	v_add_f64 v[34:35], v[36:37], v[34:35]
	v_add_f64 v[36:37], v[10:11], -v[6:7]
	v_add_f64 v[10:11], v[10:11], -v[12:13]
	v_add_f64 v[30:31], v[6:7], v[30:31]
	v_add_f64 v[6:7], v[6:7], -v[0:1]
	v_add_f64 v[32:33], v[4:5], v[32:33]
	v_add_f64 v[4:5], v[4:5], -v[2:3]
	v_add_f64 v[12:13], v[12:13], -v[0:1]
	v_add_f64 v[0:1], v[0:1], v[30:31]
	v_add_f64 v[44:45], v[6:7], v[10:11]
	v_fma_f64 v[10:11], v[42:43], s[18:19], v[24:25]
	v_add_f64 v[46:47], v[4:5], v[8:9]
	v_fma_f64 v[4:5], v[14:15], s[18:19], v[16:17]
	v_fma_f64 v[6:7], v[12:13], s[26:27], v[18:19]
	;; [unrolled: 1-line block ×7, first 2 shown]
	v_add_f64 v[2:3], v[2:3], v[32:33]
	v_fma_f64 v[4:5], v[42:43], s[12:13], v[4:5]
	v_fma_f64 v[6:7], v[36:37], s[22:23], v[6:7]
	;; [unrolled: 1-line block ×16, first 2 shown]
	v_lshlrev_b64 v[30:31], 4, v[38:39]
	v_mov_b32_e32 v28, s1
	v_add_co_u32_e32 v24, vcc, s0, v30
	v_add_u32_e32 v38, s15, v38
	v_addc_co_u32_e32 v25, vcc, v28, v31, vcc
	global_store_dwordx4 v[26:27], v[0:3], off
	global_store_dwordx4 v[20:21], v[4:7], off
	;; [unrolled: 1-line block ×4, first 2 shown]
	v_lshlrev_b64 v[0:1], 4, v[38:39]
	v_mov_b32_e32 v2, s1
	v_add_co_u32_e32 v0, vcc, s0, v0
	v_addc_co_u32_e32 v1, vcc, v2, v1, vcc
	global_store_dwordx4 v[0:1], v[16:19], off
.LBB0_13:
	s_endpgm
	.section	.rodata,"a",@progbits
	.p2align	6, 0x0
	.amdhsa_kernel fft_rtc_fwd_len625_factors_5_5_5_5_wgs_125_tpt_125_dp_op_CI_CI_sbrc_xy_z_unaligned_dirReg
		.amdhsa_group_segment_fixed_size 0
		.amdhsa_private_segment_fixed_size 0
		.amdhsa_kernarg_size 104
		.amdhsa_user_sgpr_count 6
		.amdhsa_user_sgpr_private_segment_buffer 1
		.amdhsa_user_sgpr_dispatch_ptr 0
		.amdhsa_user_sgpr_queue_ptr 0
		.amdhsa_user_sgpr_kernarg_segment_ptr 1
		.amdhsa_user_sgpr_dispatch_id 0
		.amdhsa_user_sgpr_flat_scratch_init 0
		.amdhsa_user_sgpr_private_segment_size 0
		.amdhsa_uses_dynamic_stack 0
		.amdhsa_system_sgpr_private_segment_wavefront_offset 0
		.amdhsa_system_sgpr_workgroup_id_x 1
		.amdhsa_system_sgpr_workgroup_id_y 0
		.amdhsa_system_sgpr_workgroup_id_z 0
		.amdhsa_system_sgpr_workgroup_info 0
		.amdhsa_system_vgpr_workitem_id 0
		.amdhsa_next_free_vgpr 48
		.amdhsa_next_free_sgpr 36
		.amdhsa_reserve_vcc 1
		.amdhsa_reserve_flat_scratch 0
		.amdhsa_float_round_mode_32 0
		.amdhsa_float_round_mode_16_64 0
		.amdhsa_float_denorm_mode_32 3
		.amdhsa_float_denorm_mode_16_64 3
		.amdhsa_dx10_clamp 1
		.amdhsa_ieee_mode 1
		.amdhsa_fp16_overflow 0
		.amdhsa_exception_fp_ieee_invalid_op 0
		.amdhsa_exception_fp_denorm_src 0
		.amdhsa_exception_fp_ieee_div_zero 0
		.amdhsa_exception_fp_ieee_overflow 0
		.amdhsa_exception_fp_ieee_underflow 0
		.amdhsa_exception_fp_ieee_inexact 0
		.amdhsa_exception_int_div_zero 0
	.end_amdhsa_kernel
	.text
.Lfunc_end0:
	.size	fft_rtc_fwd_len625_factors_5_5_5_5_wgs_125_tpt_125_dp_op_CI_CI_sbrc_xy_z_unaligned_dirReg, .Lfunc_end0-fft_rtc_fwd_len625_factors_5_5_5_5_wgs_125_tpt_125_dp_op_CI_CI_sbrc_xy_z_unaligned_dirReg
                                        ; -- End function
	.section	.AMDGPU.csdata,"",@progbits
; Kernel info:
; codeLenInByte = 4388
; NumSgprs: 40
; NumVgprs: 48
; ScratchSize: 0
; MemoryBound: 0
; FloatMode: 240
; IeeeMode: 1
; LDSByteSize: 0 bytes/workgroup (compile time only)
; SGPRBlocks: 4
; VGPRBlocks: 11
; NumSGPRsForWavesPerEU: 40
; NumVGPRsForWavesPerEU: 48
; Occupancy: 5
; WaveLimiterHint : 1
; COMPUTE_PGM_RSRC2:SCRATCH_EN: 0
; COMPUTE_PGM_RSRC2:USER_SGPR: 6
; COMPUTE_PGM_RSRC2:TRAP_HANDLER: 0
; COMPUTE_PGM_RSRC2:TGID_X_EN: 1
; COMPUTE_PGM_RSRC2:TGID_Y_EN: 0
; COMPUTE_PGM_RSRC2:TGID_Z_EN: 0
; COMPUTE_PGM_RSRC2:TIDIG_COMP_CNT: 0
	.type	__hip_cuid_8a3a4e9333b0716b,@object ; @__hip_cuid_8a3a4e9333b0716b
	.section	.bss,"aw",@nobits
	.globl	__hip_cuid_8a3a4e9333b0716b
__hip_cuid_8a3a4e9333b0716b:
	.byte	0                               ; 0x0
	.size	__hip_cuid_8a3a4e9333b0716b, 1

	.ident	"AMD clang version 19.0.0git (https://github.com/RadeonOpenCompute/llvm-project roc-6.4.0 25133 c7fe45cf4b819c5991fe208aaa96edf142730f1d)"
	.section	".note.GNU-stack","",@progbits
	.addrsig
	.addrsig_sym __hip_cuid_8a3a4e9333b0716b
	.amdgpu_metadata
---
amdhsa.kernels:
  - .args:
      - .actual_access:  read_only
        .address_space:  global
        .offset:         0
        .size:           8
        .value_kind:     global_buffer
      - .offset:         8
        .size:           8
        .value_kind:     by_value
      - .actual_access:  read_only
        .address_space:  global
        .offset:         16
        .size:           8
        .value_kind:     global_buffer
      - .actual_access:  read_only
        .address_space:  global
        .offset:         24
        .size:           8
        .value_kind:     global_buffer
      - .actual_access:  read_only
        .address_space:  global
        .offset:         32
        .size:           8
        .value_kind:     global_buffer
      - .offset:         40
        .size:           8
        .value_kind:     by_value
      - .actual_access:  read_only
        .address_space:  global
        .offset:         48
        .size:           8
        .value_kind:     global_buffer
      - .actual_access:  read_only
        .address_space:  global
        .offset:         56
        .size:           8
        .value_kind:     global_buffer
      - .offset:         64
        .size:           4
        .value_kind:     by_value
      - .actual_access:  read_only
        .address_space:  global
        .offset:         72
        .size:           8
        .value_kind:     global_buffer
      - .actual_access:  read_only
        .address_space:  global
        .offset:         80
        .size:           8
        .value_kind:     global_buffer
      - .actual_access:  read_only
        .address_space:  global
        .offset:         88
        .size:           8
        .value_kind:     global_buffer
      - .actual_access:  write_only
        .address_space:  global
        .offset:         96
        .size:           8
        .value_kind:     global_buffer
    .group_segment_fixed_size: 0
    .kernarg_segment_align: 8
    .kernarg_segment_size: 104
    .language:       OpenCL C
    .language_version:
      - 2
      - 0
    .max_flat_workgroup_size: 125
    .name:           fft_rtc_fwd_len625_factors_5_5_5_5_wgs_125_tpt_125_dp_op_CI_CI_sbrc_xy_z_unaligned_dirReg
    .private_segment_fixed_size: 0
    .sgpr_count:     40
    .sgpr_spill_count: 0
    .symbol:         fft_rtc_fwd_len625_factors_5_5_5_5_wgs_125_tpt_125_dp_op_CI_CI_sbrc_xy_z_unaligned_dirReg.kd
    .uniform_work_group_size: 1
    .uses_dynamic_stack: false
    .vgpr_count:     48
    .vgpr_spill_count: 0
    .wavefront_size: 64
amdhsa.target:   amdgcn-amd-amdhsa--gfx906
amdhsa.version:
  - 1
  - 2
...

	.end_amdgpu_metadata
